;; amdgpu-corpus repo=ROCm/rocFFT kind=compiled arch=gfx1201 opt=O3
	.text
	.amdgcn_target "amdgcn-amd-amdhsa--gfx1201"
	.amdhsa_code_object_version 6
	.protected	fft_rtc_fwd_len810_factors_3_10_3_3_3_wgs_81_tpt_81_halfLds_sp_op_CI_CI_unitstride_sbrr_dirReg ; -- Begin function fft_rtc_fwd_len810_factors_3_10_3_3_3_wgs_81_tpt_81_halfLds_sp_op_CI_CI_unitstride_sbrr_dirReg
	.globl	fft_rtc_fwd_len810_factors_3_10_3_3_3_wgs_81_tpt_81_halfLds_sp_op_CI_CI_unitstride_sbrr_dirReg
	.p2align	8
	.type	fft_rtc_fwd_len810_factors_3_10_3_3_3_wgs_81_tpt_81_halfLds_sp_op_CI_CI_unitstride_sbrr_dirReg,@function
fft_rtc_fwd_len810_factors_3_10_3_3_3_wgs_81_tpt_81_halfLds_sp_op_CI_CI_unitstride_sbrr_dirReg: ; @fft_rtc_fwd_len810_factors_3_10_3_3_3_wgs_81_tpt_81_halfLds_sp_op_CI_CI_unitstride_sbrr_dirReg
; %bb.0:
	s_clause 0x2
	s_load_b128 s[4:7], s[0:1], 0x0
	s_load_b128 s[8:11], s[0:1], 0x58
	;; [unrolled: 1-line block ×3, first 2 shown]
	v_mul_u32_u24_e32 v1, 0x32a, v0
	v_mov_b32_e32 v7, 0
	v_mov_b32_e32 v5, 0
	;; [unrolled: 1-line block ×3, first 2 shown]
	s_delay_alu instid0(VALU_DEP_4) | instskip(NEXT) | instid1(VALU_DEP_1)
	v_lshrrev_b32_e32 v1, 16, v1
	v_dual_mov_b32 v10, v7 :: v_dual_add_nc_u32 v9, ttmp9, v1
	s_wait_kmcnt 0x0
	v_cmp_lt_u64_e64 s2, s[6:7], 2
	s_delay_alu instid0(VALU_DEP_1)
	s_and_b32 vcc_lo, exec_lo, s2
	s_cbranch_vccnz .LBB0_8
; %bb.1:
	s_load_b64 s[2:3], s[0:1], 0x10
	v_mov_b32_e32 v5, 0
	v_mov_b32_e32 v6, 0
	s_delay_alu instid0(VALU_DEP_2)
	v_mov_b32_e32 v1, v5
	s_add_nc_u64 s[16:17], s[14:15], 8
	s_add_nc_u64 s[18:19], s[12:13], 8
	s_mov_b64 s[20:21], 1
	v_mov_b32_e32 v2, v6
	s_wait_kmcnt 0x0
	s_add_nc_u64 s[22:23], s[2:3], 8
	s_mov_b32 s3, 0
.LBB0_2:                                ; =>This Inner Loop Header: Depth=1
	s_load_b64 s[24:25], s[22:23], 0x0
                                        ; implicit-def: $vgpr3_vgpr4
	s_mov_b32 s2, exec_lo
	s_wait_kmcnt 0x0
	v_or_b32_e32 v8, s25, v10
	s_delay_alu instid0(VALU_DEP_1)
	v_cmpx_ne_u64_e32 0, v[7:8]
	s_wait_alu 0xfffe
	s_xor_b32 s26, exec_lo, s2
	s_cbranch_execz .LBB0_4
; %bb.3:                                ;   in Loop: Header=BB0_2 Depth=1
	s_cvt_f32_u32 s2, s24
	s_cvt_f32_u32 s27, s25
	s_sub_nc_u64 s[30:31], 0, s[24:25]
	s_wait_alu 0xfffe
	s_delay_alu instid0(SALU_CYCLE_1) | instskip(SKIP_1) | instid1(SALU_CYCLE_2)
	s_fmamk_f32 s2, s27, 0x4f800000, s2
	s_wait_alu 0xfffe
	v_s_rcp_f32 s2, s2
	s_delay_alu instid0(TRANS32_DEP_1) | instskip(SKIP_1) | instid1(SALU_CYCLE_2)
	s_mul_f32 s2, s2, 0x5f7ffffc
	s_wait_alu 0xfffe
	s_mul_f32 s27, s2, 0x2f800000
	s_wait_alu 0xfffe
	s_delay_alu instid0(SALU_CYCLE_2) | instskip(SKIP_1) | instid1(SALU_CYCLE_2)
	s_trunc_f32 s27, s27
	s_wait_alu 0xfffe
	s_fmamk_f32 s2, s27, 0xcf800000, s2
	s_cvt_u32_f32 s29, s27
	s_wait_alu 0xfffe
	s_delay_alu instid0(SALU_CYCLE_1) | instskip(SKIP_1) | instid1(SALU_CYCLE_2)
	s_cvt_u32_f32 s28, s2
	s_wait_alu 0xfffe
	s_mul_u64 s[34:35], s[30:31], s[28:29]
	s_wait_alu 0xfffe
	s_mul_hi_u32 s37, s28, s35
	s_mul_i32 s36, s28, s35
	s_mul_hi_u32 s2, s28, s34
	s_mul_i32 s33, s29, s34
	s_wait_alu 0xfffe
	s_add_nc_u64 s[36:37], s[2:3], s[36:37]
	s_mul_hi_u32 s27, s29, s34
	s_mul_hi_u32 s38, s29, s35
	s_add_co_u32 s2, s36, s33
	s_wait_alu 0xfffe
	s_add_co_ci_u32 s2, s37, s27
	s_mul_i32 s34, s29, s35
	s_add_co_ci_u32 s35, s38, 0
	s_wait_alu 0xfffe
	s_add_nc_u64 s[34:35], s[2:3], s[34:35]
	s_wait_alu 0xfffe
	v_add_co_u32 v3, s2, s28, s34
	s_delay_alu instid0(VALU_DEP_1) | instskip(SKIP_1) | instid1(VALU_DEP_1)
	s_cmp_lg_u32 s2, 0
	s_add_co_ci_u32 s29, s29, s35
	v_readfirstlane_b32 s28, v3
	s_wait_alu 0xfffe
	s_delay_alu instid0(VALU_DEP_1)
	s_mul_u64 s[30:31], s[30:31], s[28:29]
	s_wait_alu 0xfffe
	s_mul_hi_u32 s35, s28, s31
	s_mul_i32 s34, s28, s31
	s_mul_hi_u32 s2, s28, s30
	s_mul_i32 s33, s29, s30
	s_wait_alu 0xfffe
	s_add_nc_u64 s[34:35], s[2:3], s[34:35]
	s_mul_hi_u32 s27, s29, s30
	s_mul_hi_u32 s28, s29, s31
	s_wait_alu 0xfffe
	s_add_co_u32 s2, s34, s33
	s_add_co_ci_u32 s2, s35, s27
	s_mul_i32 s30, s29, s31
	s_add_co_ci_u32 s31, s28, 0
	s_wait_alu 0xfffe
	s_add_nc_u64 s[30:31], s[2:3], s[30:31]
	s_wait_alu 0xfffe
	v_add_co_u32 v8, s2, v3, s30
	s_delay_alu instid0(VALU_DEP_1) | instskip(SKIP_1) | instid1(VALU_DEP_1)
	s_cmp_lg_u32 s2, 0
	s_add_co_ci_u32 s2, s29, s31
	v_mul_hi_u32 v15, v9, v8
	s_wait_alu 0xfffe
	v_mad_co_u64_u32 v[3:4], null, v9, s2, 0
	v_mad_co_u64_u32 v[11:12], null, v10, v8, 0
	;; [unrolled: 1-line block ×3, first 2 shown]
	s_delay_alu instid0(VALU_DEP_3) | instskip(SKIP_1) | instid1(VALU_DEP_4)
	v_add_co_u32 v3, vcc_lo, v15, v3
	s_wait_alu 0xfffd
	v_add_co_ci_u32_e32 v4, vcc_lo, 0, v4, vcc_lo
	s_delay_alu instid0(VALU_DEP_2) | instskip(SKIP_1) | instid1(VALU_DEP_2)
	v_add_co_u32 v3, vcc_lo, v3, v11
	s_wait_alu 0xfffd
	v_add_co_ci_u32_e32 v3, vcc_lo, v4, v12, vcc_lo
	s_wait_alu 0xfffd
	v_add_co_ci_u32_e32 v4, vcc_lo, 0, v14, vcc_lo
	s_delay_alu instid0(VALU_DEP_2) | instskip(SKIP_1) | instid1(VALU_DEP_2)
	v_add_co_u32 v8, vcc_lo, v3, v13
	s_wait_alu 0xfffd
	v_add_co_ci_u32_e32 v11, vcc_lo, 0, v4, vcc_lo
	s_delay_alu instid0(VALU_DEP_2) | instskip(SKIP_1) | instid1(VALU_DEP_3)
	v_mul_lo_u32 v12, s25, v8
	v_mad_co_u64_u32 v[3:4], null, s24, v8, 0
	v_mul_lo_u32 v13, s24, v11
	s_delay_alu instid0(VALU_DEP_2) | instskip(NEXT) | instid1(VALU_DEP_2)
	v_sub_co_u32 v3, vcc_lo, v9, v3
	v_add3_u32 v4, v4, v13, v12
	s_delay_alu instid0(VALU_DEP_1) | instskip(SKIP_1) | instid1(VALU_DEP_1)
	v_sub_nc_u32_e32 v12, v10, v4
	s_wait_alu 0xfffd
	v_subrev_co_ci_u32_e64 v12, s2, s25, v12, vcc_lo
	v_add_co_u32 v13, s2, v8, 2
	s_wait_alu 0xf1ff
	v_add_co_ci_u32_e64 v14, s2, 0, v11, s2
	v_sub_co_u32 v15, s2, v3, s24
	v_sub_co_ci_u32_e32 v4, vcc_lo, v10, v4, vcc_lo
	s_wait_alu 0xf1ff
	v_subrev_co_ci_u32_e64 v12, s2, 0, v12, s2
	s_delay_alu instid0(VALU_DEP_3) | instskip(NEXT) | instid1(VALU_DEP_3)
	v_cmp_le_u32_e32 vcc_lo, s24, v15
	v_cmp_eq_u32_e64 s2, s25, v4
	s_wait_alu 0xfffd
	v_cndmask_b32_e64 v15, 0, -1, vcc_lo
	v_cmp_le_u32_e32 vcc_lo, s25, v12
	s_wait_alu 0xfffd
	v_cndmask_b32_e64 v16, 0, -1, vcc_lo
	v_cmp_le_u32_e32 vcc_lo, s24, v3
	;; [unrolled: 3-line block ×3, first 2 shown]
	s_wait_alu 0xfffd
	v_cndmask_b32_e64 v17, 0, -1, vcc_lo
	v_cmp_eq_u32_e32 vcc_lo, s25, v12
	s_wait_alu 0xf1ff
	s_delay_alu instid0(VALU_DEP_2)
	v_cndmask_b32_e64 v3, v17, v3, s2
	s_wait_alu 0xfffd
	v_cndmask_b32_e32 v12, v16, v15, vcc_lo
	v_add_co_u32 v15, vcc_lo, v8, 1
	s_wait_alu 0xfffd
	v_add_co_ci_u32_e32 v16, vcc_lo, 0, v11, vcc_lo
	s_delay_alu instid0(VALU_DEP_3) | instskip(SKIP_1) | instid1(VALU_DEP_2)
	v_cmp_ne_u32_e32 vcc_lo, 0, v12
	s_wait_alu 0xfffd
	v_cndmask_b32_e32 v4, v16, v14, vcc_lo
	v_cndmask_b32_e32 v12, v15, v13, vcc_lo
	v_cmp_ne_u32_e32 vcc_lo, 0, v3
	s_wait_alu 0xfffd
	s_delay_alu instid0(VALU_DEP_3) | instskip(NEXT) | instid1(VALU_DEP_3)
	v_cndmask_b32_e32 v4, v11, v4, vcc_lo
	v_cndmask_b32_e32 v3, v8, v12, vcc_lo
.LBB0_4:                                ;   in Loop: Header=BB0_2 Depth=1
	s_wait_alu 0xfffe
	s_and_not1_saveexec_b32 s2, s26
	s_cbranch_execz .LBB0_6
; %bb.5:                                ;   in Loop: Header=BB0_2 Depth=1
	v_cvt_f32_u32_e32 v3, s24
	s_sub_co_i32 s26, 0, s24
	s_delay_alu instid0(VALU_DEP_1) | instskip(NEXT) | instid1(TRANS32_DEP_1)
	v_rcp_iflag_f32_e32 v3, v3
	v_mul_f32_e32 v3, 0x4f7ffffe, v3
	s_delay_alu instid0(VALU_DEP_1) | instskip(SKIP_1) | instid1(VALU_DEP_1)
	v_cvt_u32_f32_e32 v3, v3
	s_wait_alu 0xfffe
	v_mul_lo_u32 v4, s26, v3
	s_delay_alu instid0(VALU_DEP_1) | instskip(NEXT) | instid1(VALU_DEP_1)
	v_mul_hi_u32 v4, v3, v4
	v_add_nc_u32_e32 v3, v3, v4
	s_delay_alu instid0(VALU_DEP_1) | instskip(NEXT) | instid1(VALU_DEP_1)
	v_mul_hi_u32 v3, v9, v3
	v_mul_lo_u32 v4, v3, s24
	v_add_nc_u32_e32 v8, 1, v3
	s_delay_alu instid0(VALU_DEP_2) | instskip(NEXT) | instid1(VALU_DEP_1)
	v_sub_nc_u32_e32 v4, v9, v4
	v_subrev_nc_u32_e32 v11, s24, v4
	v_cmp_le_u32_e32 vcc_lo, s24, v4
	s_wait_alu 0xfffd
	s_delay_alu instid0(VALU_DEP_2) | instskip(NEXT) | instid1(VALU_DEP_1)
	v_dual_cndmask_b32 v4, v4, v11 :: v_dual_cndmask_b32 v3, v3, v8
	v_cmp_le_u32_e32 vcc_lo, s24, v4
	s_delay_alu instid0(VALU_DEP_2) | instskip(SKIP_2) | instid1(VALU_DEP_2)
	v_add_nc_u32_e32 v8, 1, v3
	v_mov_b32_e32 v4, v7
	s_wait_alu 0xfffd
	v_cndmask_b32_e32 v3, v3, v8, vcc_lo
.LBB0_6:                                ;   in Loop: Header=BB0_2 Depth=1
	s_wait_alu 0xfffe
	s_or_b32 exec_lo, exec_lo, s2
	v_mul_lo_u32 v8, v4, s24
	s_delay_alu instid0(VALU_DEP_2)
	v_mul_lo_u32 v13, v3, s25
	s_load_b64 s[26:27], s[18:19], 0x0
	v_mad_co_u64_u32 v[11:12], null, v3, s24, 0
	s_load_b64 s[24:25], s[16:17], 0x0
	s_add_nc_u64 s[20:21], s[20:21], 1
	s_add_nc_u64 s[16:17], s[16:17], 8
	s_wait_alu 0xfffe
	v_cmp_ge_u64_e64 s2, s[20:21], s[6:7]
	s_add_nc_u64 s[18:19], s[18:19], 8
	s_add_nc_u64 s[22:23], s[22:23], 8
	v_add3_u32 v8, v12, v13, v8
	v_sub_co_u32 v9, vcc_lo, v9, v11
	s_wait_alu 0xfffd
	s_delay_alu instid0(VALU_DEP_2) | instskip(SKIP_2) | instid1(VALU_DEP_1)
	v_sub_co_ci_u32_e32 v8, vcc_lo, v10, v8, vcc_lo
	s_and_b32 vcc_lo, exec_lo, s2
	s_wait_kmcnt 0x0
	v_mul_lo_u32 v10, s26, v8
	v_mul_lo_u32 v11, s27, v9
	v_mad_co_u64_u32 v[5:6], null, s26, v9, v[5:6]
	v_mul_lo_u32 v8, s24, v8
	v_mul_lo_u32 v12, s25, v9
	v_mad_co_u64_u32 v[1:2], null, s24, v9, v[1:2]
	s_delay_alu instid0(VALU_DEP_4) | instskip(NEXT) | instid1(VALU_DEP_2)
	v_add3_u32 v6, v11, v6, v10
	v_add3_u32 v2, v12, v2, v8
	s_wait_alu 0xfffe
	s_cbranch_vccnz .LBB0_9
; %bb.7:                                ;   in Loop: Header=BB0_2 Depth=1
	v_dual_mov_b32 v10, v4 :: v_dual_mov_b32 v9, v3
	s_branch .LBB0_2
.LBB0_8:
	v_dual_mov_b32 v1, v5 :: v_dual_mov_b32 v2, v6
	v_dual_mov_b32 v3, v9 :: v_dual_mov_b32 v4, v10
.LBB0_9:
	s_load_b64 s[2:3], s[0:1], 0x28
	v_mul_hi_u32 v8, 0x3291620, v0
	s_lshl_b64 s[6:7], s[6:7], 3
                                        ; implicit-def: $vgpr32
	s_wait_kmcnt 0x0
	v_cmp_gt_u64_e64 s0, s[2:3], v[3:4]
	v_cmp_le_u64_e32 vcc_lo, s[2:3], v[3:4]
	s_wait_alu 0xfffe
	s_add_nc_u64 s[2:3], s[14:15], s[6:7]
	s_and_saveexec_b32 s1, vcc_lo
	s_wait_alu 0xfffe
	s_xor_b32 s1, exec_lo, s1
; %bb.10:
	v_mul_u32_u24_e32 v5, 0x51, v8
                                        ; implicit-def: $vgpr8
	s_delay_alu instid0(VALU_DEP_1)
	v_sub_nc_u32_e32 v32, v0, v5
                                        ; implicit-def: $vgpr0
                                        ; implicit-def: $vgpr5_vgpr6
; %bb.11:
	s_wait_alu 0xfffe
	s_or_saveexec_b32 s1, s1
	s_load_b64 s[2:3], s[2:3], 0x0
                                        ; implicit-def: $vgpr27
                                        ; implicit-def: $vgpr21
                                        ; implicit-def: $vgpr17
                                        ; implicit-def: $vgpr29
                                        ; implicit-def: $vgpr7
                                        ; implicit-def: $vgpr19
                                        ; implicit-def: $vgpr9
                                        ; implicit-def: $vgpr11
                                        ; implicit-def: $vgpr25
                                        ; implicit-def: $vgpr13
                                        ; implicit-def: $vgpr15
                                        ; implicit-def: $vgpr23
	s_xor_b32 exec_lo, exec_lo, s1
	s_cbranch_execz .LBB0_15
; %bb.12:
	s_add_nc_u64 s[6:7], s[12:13], s[6:7]
	v_lshlrev_b64_e32 v[5:6], 3, v[5:6]
	s_load_b64 s[6:7], s[6:7], 0x0
                                        ; implicit-def: $vgpr16
                                        ; implicit-def: $vgpr20
                                        ; implicit-def: $vgpr26
	s_wait_kmcnt 0x0
	v_mul_lo_u32 v7, s7, v3
	v_mul_lo_u32 v11, s6, v4
	v_mad_co_u64_u32 v[9:10], null, s6, v3, 0
	s_mov_b32 s6, exec_lo
	s_delay_alu instid0(VALU_DEP_1) | instskip(SKIP_1) | instid1(VALU_DEP_2)
	v_add3_u32 v10, v10, v11, v7
	v_mul_u32_u24_e32 v11, 0x51, v8
	v_lshlrev_b64_e32 v[7:8], 3, v[9:10]
	s_delay_alu instid0(VALU_DEP_2) | instskip(NEXT) | instid1(VALU_DEP_2)
	v_sub_nc_u32_e32 v32, v0, v11
	v_add_co_u32 v0, vcc_lo, s8, v7
	s_wait_alu 0xfffd
	s_delay_alu instid0(VALU_DEP_3) | instskip(NEXT) | instid1(VALU_DEP_3)
	v_add_co_ci_u32_e32 v7, vcc_lo, s9, v8, vcc_lo
	v_lshlrev_b32_e32 v8, 3, v32
	s_delay_alu instid0(VALU_DEP_3) | instskip(SKIP_1) | instid1(VALU_DEP_3)
	v_add_co_u32 v0, vcc_lo, v0, v5
	s_wait_alu 0xfffd
	v_add_co_ci_u32_e32 v5, vcc_lo, v7, v6, vcc_lo
	s_delay_alu instid0(VALU_DEP_2) | instskip(SKIP_1) | instid1(VALU_DEP_2)
	v_add_co_u32 v30, vcc_lo, v0, v8
	s_wait_alu 0xfffd
	v_add_co_ci_u32_e32 v31, vcc_lo, 0, v5, vcc_lo
	s_clause 0x8
	global_load_b64 v[22:23], v[30:31], off
	global_load_b64 v[24:25], v[30:31], off offset:648
	global_load_b64 v[10:11], v[30:31], off offset:2808
	;; [unrolled: 1-line block ×8, first 2 shown]
	v_cmpx_gt_u32_e32 27, v32
; %bb.13:
	s_clause 0x2
	global_load_b64 v[16:17], v[30:31], off offset:1944
	global_load_b64 v[20:21], v[30:31], off offset:4104
	global_load_b64 v[26:27], v[30:31], off offset:6264
; %bb.14:
	s_wait_alu 0xfffe
	s_or_b32 exec_lo, exec_lo, s6
.LBB0_15:
	s_delay_alu instid0(SALU_CYCLE_1) | instskip(SKIP_3) | instid1(VALU_DEP_2)
	s_or_b32 exec_lo, exec_lo, s1
	s_wait_loadcnt 0x2
	v_dual_add_f32 v0, v12, v14 :: v_dual_sub_f32 v33, v11, v9
	v_dual_add_f32 v5, v14, v22 :: v_dual_sub_f32 v30, v15, v13
	v_dual_add_f32 v31, v8, v10 :: v_dual_fmac_f32 v22, -0.5, v0
	v_add_f32_e32 v0, v10, v24
	s_delay_alu instid0(VALU_DEP_3) | instskip(SKIP_1) | instid1(VALU_DEP_3)
	v_add_f32_e32 v34, v12, v5
	s_wait_loadcnt 0x0
	v_dual_add_f32 v5, v28, v6 :: v_dual_fmac_f32 v24, -0.5, v31
	v_add_f32_e32 v31, v6, v18
	v_fmamk_f32 v37, v30, 0x3f5db3d7, v22
	v_fmac_f32_e32 v22, 0xbf5db3d7, v30
	s_delay_alu instid0(VALU_DEP_4) | instskip(SKIP_4) | instid1(VALU_DEP_3)
	v_fmac_f32_e32 v18, -0.5, v5
	v_mad_u32_u24 v5, v32, 12, 0
	v_add_f32_e32 v30, v26, v20
	v_dual_add_f32 v0, v8, v0 :: v_dual_sub_f32 v35, v21, v27
	v_dual_fmamk_f32 v38, v33, 0x3f5db3d7, v24 :: v_dual_add_f32 v39, v28, v31
	v_fma_f32 v30, -0.5, v30, v16
	v_fmac_f32_e32 v24, 0xbf5db3d7, v33
	v_sub_f32_e32 v33, v7, v29
	v_add_nc_u32_e32 v36, 0x798, v5
	v_cmp_gt_u32_e32 vcc_lo, 27, v32
	v_fmamk_f32 v31, v35, 0x3f5db3d7, v30
	v_fmac_f32_e32 v30, 0xbf5db3d7, v35
	v_add_nc_u32_e32 v35, 0xb64, v5
	v_fmamk_f32 v40, v33, 0x3f5db3d7, v18
	v_fmac_f32_e32 v18, 0xbf5db3d7, v33
	ds_store_2addr_b32 v5, v34, v37 offset1:1
	ds_store_2addr_b32 v5, v0, v38 offset0:243 offset1:244
	ds_store_2addr_b32 v5, v22, v24 offset0:2 offset1:245
	ds_store_2addr_b32 v36, v39, v40 offset1:1
	ds_store_b32 v5, v18 offset:1952
	s_and_saveexec_b32 s1, vcc_lo
	s_cbranch_execz .LBB0_17
; %bb.16:
	v_add_f32_e32 v0, v20, v16
	s_delay_alu instid0(VALU_DEP_1)
	v_add_f32_e32 v0, v26, v0
	ds_store_2addr_b32 v35, v0, v31 offset1:1
	ds_store_b32 v5, v30 offset:2924
.LBB0_17:
	s_wait_alu 0xfffe
	s_or_b32 exec_lo, exec_lo, s1
	v_sub_f32_e32 v12, v14, v12
	v_add_f32_e32 v14, v9, v11
	v_add_f32_e32 v0, v13, v15
	v_dual_add_f32 v15, v15, v23 :: v_dual_sub_f32 v24, v10, v8
	global_wb scope:SCOPE_SE
	s_wait_dscnt 0x0
	s_wait_kmcnt 0x0
	s_barrier_signal -1
	v_fmac_f32_e32 v23, -0.5, v0
	v_dual_add_f32 v37, v13, v15 :: v_dual_add_f32 v0, v11, v25
	v_add_f32_e32 v41, v7, v19
	v_fmac_f32_e32 v25, -0.5, v14
	s_delay_alu instid0(VALU_DEP_4)
	v_fmamk_f32 v38, v12, 0xbf5db3d7, v23
	v_fmac_f32_e32 v23, 0x3f5db3d7, v12
	v_add_f32_e32 v39, v9, v0
	v_lshlrev_b32_e32 v0, 3, v32
	s_barrier_wait -1
	global_inv scope:SCOPE_SE
	v_sub_f32_e32 v20, v20, v26
	v_sub_f32_e32 v6, v6, v28
	v_sub_nc_u32_e32 v0, v5, v0
	v_add_f32_e32 v22, v29, v7
	v_fmamk_f32 v40, v24, 0xbf5db3d7, v25
	v_fmac_f32_e32 v25, 0x3f5db3d7, v24
	s_delay_alu instid0(VALU_DEP_4)
	v_add_nc_u32_e32 v33, 0x800, v0
	v_add_nc_u32_e32 v18, 0x400, v0
	;; [unrolled: 1-line block ×3, first 2 shown]
	ds_load_2addr_b32 v[7:8], v0 offset1:81
	ds_load_2addr_b32 v[15:16], v0 offset0:162 offset1:243
	ds_load_2addr_b32 v[13:14], v18 offset0:68 offset1:149
	;; [unrolled: 1-line block ×4, first 2 shown]
	v_dual_add_f32 v42, v27, v21 :: v_dual_fmac_f32 v19, -0.5, v22
	v_add_f32_e32 v26, v29, v41
	global_wb scope:SCOPE_SE
	s_wait_dscnt 0x0
	s_barrier_signal -1
	v_fma_f32 v22, -0.5, v42, v17
	v_fmamk_f32 v28, v6, 0xbf5db3d7, v19
	v_fmac_f32_e32 v19, 0x3f5db3d7, v6
	s_barrier_wait -1
	global_inv scope:SCOPE_SE
	v_fmamk_f32 v24, v20, 0xbf5db3d7, v22
	v_fmac_f32_e32 v22, 0x3f5db3d7, v20
	ds_store_2addr_b32 v5, v37, v38 offset1:1
	ds_store_2addr_b32 v5, v39, v40 offset0:243 offset1:244
	ds_store_2addr_b32 v5, v23, v25 offset0:2 offset1:245
	ds_store_2addr_b32 v36, v26, v28 offset1:1
	ds_store_b32 v5, v19 offset:1952
	s_and_saveexec_b32 s1, vcc_lo
	s_cbranch_execz .LBB0_19
; %bb.18:
	v_add_f32_e32 v6, v21, v17
	s_delay_alu instid0(VALU_DEP_1)
	v_add_f32_e32 v6, v27, v6
	ds_store_2addr_b32 v35, v6, v24 offset1:1
	ds_store_b32 v5, v22 offset:2924
.LBB0_19:
	s_wait_alu 0xfffe
	s_or_b32 exec_lo, exec_lo, s1
	v_and_b32_e32 v23, 0xff, v32
	global_wb scope:SCOPE_SE
	s_wait_dscnt 0x0
	s_barrier_signal -1
	s_barrier_wait -1
	global_inv scope:SCOPE_SE
	v_mul_lo_u16 v5, 0xab, v23
	s_delay_alu instid0(VALU_DEP_1) | instskip(NEXT) | instid1(VALU_DEP_1)
	v_lshrrev_b16 v17, 9, v5
	v_mul_lo_u16 v5, v17, 3
	s_delay_alu instid0(VALU_DEP_1) | instskip(NEXT) | instid1(VALU_DEP_1)
	v_sub_nc_u16 v5, v32, v5
	v_and_b32_e32 v19, 0xff, v5
	s_delay_alu instid0(VALU_DEP_1) | instskip(NEXT) | instid1(VALU_DEP_1)
	v_mul_u32_u24_e32 v5, 9, v19
	v_lshlrev_b32_e32 v5, 3, v5
	s_clause 0x4
	global_load_b128 v[40:43], v5, s[4:5]
	global_load_b128 v[44:47], v5, s[4:5] offset:16
	global_load_b128 v[48:51], v5, s[4:5] offset:32
	;; [unrolled: 1-line block ×3, first 2 shown]
	global_load_b64 v[25:26], v5, s[4:5] offset:64
	ds_load_2addr_b32 v[5:6], v0 offset1:81
	ds_load_2addr_b32 v[56:57], v0 offset0:162 offset1:243
	ds_load_2addr_b32 v[58:59], v18 offset0:68 offset1:149
	;; [unrolled: 1-line block ×3, first 2 shown]
	v_and_b32_e32 v17, 0xffff, v17
	ds_load_2addr_b32 v[62:63], v33 offset0:136 offset1:217
	global_wb scope:SCOPE_SE
	s_wait_loadcnt_dscnt 0x0
	s_barrier_signal -1
	s_barrier_wait -1
	v_mul_u32_u24_e32 v17, 0x78, v17
	global_inv scope:SCOPE_SE
	v_mul_f32_e32 v28, v56, v43
	v_mul_f32_e32 v36, v15, v43
	v_lshlrev_b32_e32 v20, 2, v19
	v_dual_mul_f32 v34, v14, v49 :: v_dual_add_nc_u32 v19, 0x200, v0
	v_dual_mul_f32 v27, v8, v41 :: v_dual_mul_f32 v38, v11, v51
	s_delay_alu instid0(VALU_DEP_3) | instskip(NEXT) | instid1(VALU_DEP_3)
	v_add3_u32 v20, 0, v17, v20
	v_dual_mul_f32 v17, v6, v41 :: v_dual_fmac_f32 v34, v59, v48
	v_dual_mul_f32 v41, v57, v45 :: v_dual_fmac_f32 v36, v56, v42
	v_fma_f32 v43, v15, v42, -v28
	v_mul_f32_e32 v35, v16, v45
	v_dual_mul_f32 v45, v58, v47 :: v_dual_fmac_f32 v38, v60, v50
	v_mul_f32_e32 v37, v13, v47
	v_mul_f32_e32 v47, v59, v49
	v_fma_f32 v21, v8, v40, -v17
	s_delay_alu instid0(VALU_DEP_4)
	v_fma_f32 v13, v13, v46, -v45
	v_mul_f32_e32 v29, v12, v53
	v_mul_f32_e32 v49, v60, v51
	;; [unrolled: 1-line block ×3, first 2 shown]
	v_fmac_f32_e32 v27, v6, v40
	v_fma_f32 v6, v16, v44, -v41
	v_mul_f32_e32 v53, v62, v55
	v_sub_f32_e32 v28, v13, v43
	v_fmac_f32_e32 v29, v61, v52
	v_mul_f32_e32 v39, v9, v55
	v_mul_f32_e32 v55, v63, v26
	;; [unrolled: 1-line block ×3, first 2 shown]
	v_add_f32_e32 v42, v21, v6
	s_delay_alu instid0(VALU_DEP_2) | instskip(SKIP_3) | instid1(VALU_DEP_4)
	v_dual_fmac_f32 v26, v63, v25 :: v_dual_fmac_f32 v37, v58, v46
	v_fma_f32 v46, v9, v54, -v53
	v_fma_f32 v9, v10, v25, -v55
	v_add_f32_e32 v10, v7, v43
	v_sub_f32_e32 v16, v37, v38
	v_fma_f32 v8, v14, v48, -v47
	v_fma_f32 v14, v12, v52, -v51
	v_dual_fmac_f32 v35, v57, v44 :: v_dual_sub_f32 v12, v43, v13
	v_fma_f32 v40, v11, v50, -v49
	v_add_f32_e32 v50, v6, v9
	s_delay_alu instid0(VALU_DEP_4)
	v_sub_f32_e32 v52, v14, v9
	v_add_f32_e32 v44, v8, v14
	v_sub_f32_e32 v51, v8, v6
	v_dual_sub_f32 v41, v40, v46 :: v_dual_add_f32 v60, v10, v13
	v_sub_f32_e32 v47, v35, v26
	v_sub_f32_e32 v55, v35, v34
	v_fma_f32 v10, -0.5, v44, v21
	v_sub_f32_e32 v45, v6, v8
	v_dual_sub_f32 v6, v6, v9 :: v_dual_add_f32 v11, v13, v40
	v_sub_f32_e32 v56, v26, v29
	v_sub_f32_e32 v48, v34, v29
	v_fmac_f32_e32 v39, v62, v54
	v_sub_f32_e32 v54, v8, v14
	v_dual_add_f32 v57, v35, v26 :: v_dual_add_f32 v8, v42, v8
	v_sub_f32_e32 v17, v46, v40
	v_dual_fmac_f32 v21, -0.5, v50 :: v_dual_add_f32 v50, v55, v56
	v_sub_f32_e32 v15, v36, v39
	s_delay_alu instid0(VALU_DEP_4) | instskip(NEXT) | instid1(VALU_DEP_4)
	v_add_f32_e32 v8, v8, v14
	v_add_f32_e32 v17, v12, v17
	v_fma_f32 v12, -0.5, v57, v27
	v_add_f32_e32 v53, v34, v29
	v_dual_add_f32 v25, v43, v46 :: v_dual_sub_f32 v58, v34, v35
	v_dual_sub_f32 v49, v9, v14 :: v_dual_fmamk_f32 v44, v48, 0xbf737871, v21
	v_fma_f32 v61, -0.5, v11, v7
	v_fmamk_f32 v42, v54, 0x3f737871, v12
	v_fmac_f32_e32 v12, 0xbf737871, v54
	v_fma_f32 v11, -0.5, v53, v27
	v_fmac_f32_e32 v7, -0.5, v25
	v_add_f32_e32 v25, v28, v41
	v_add_f32_e32 v28, v45, v49
	v_fmac_f32_e32 v12, 0x3f167918, v6
	v_fmamk_f32 v41, v6, 0xbf737871, v11
	v_dual_fmac_f32 v42, 0xbf167918, v6 :: v_dual_add_f32 v49, v51, v52
	v_dual_add_f32 v52, v60, v40 :: v_dual_sub_f32 v59, v29, v26
	v_fmac_f32_e32 v44, 0x3f167918, v47
	s_delay_alu instid0(VALU_DEP_4) | instskip(NEXT) | instid1(VALU_DEP_3)
	v_dual_add_f32 v8, v8, v9 :: v_dual_fmac_f32 v41, 0xbf167918, v54
	v_dual_add_f32 v14, v52, v46 :: v_dual_fmamk_f32 v53, v15, 0x3f737871, v61
	s_delay_alu instid0(VALU_DEP_4) | instskip(SKIP_1) | instid1(VALU_DEP_4)
	v_add_f32_e32 v51, v58, v59
	v_fmac_f32_e32 v11, 0x3f737871, v6
	v_fmac_f32_e32 v41, 0x3e9e377a, v50
	s_delay_alu instid0(VALU_DEP_4) | instskip(NEXT) | instid1(VALU_DEP_4)
	v_fmac_f32_e32 v53, 0x3f167918, v16
	v_fmac_f32_e32 v42, 0x3e9e377a, v51
	;; [unrolled: 1-line block ×3, first 2 shown]
	s_delay_alu instid0(VALU_DEP_4) | instskip(NEXT) | instid1(VALU_DEP_4)
	v_mul_f32_e32 v6, 0x3f167918, v41
	v_dual_fmac_f32 v12, 0x3e9e377a, v51 :: v_dual_fmac_f32 v53, 0x3e9e377a, v17
	v_fmamk_f32 v45, v47, 0x3f737871, v10
	v_fmac_f32_e32 v10, 0xbf737871, v47
	v_fmac_f32_e32 v11, 0x3f167918, v54
	v_mul_f32_e32 v9, 0x3f737871, v42
	s_delay_alu instid0(VALU_DEP_4) | instskip(NEXT) | instid1(VALU_DEP_4)
	v_fmac_f32_e32 v45, 0x3f167918, v48
	v_fmac_f32_e32 v10, 0xbf167918, v48
	s_delay_alu instid0(VALU_DEP_4) | instskip(NEXT) | instid1(VALU_DEP_4)
	v_fmac_f32_e32 v11, 0x3e9e377a, v50
	v_fmac_f32_e32 v9, 0x3e9e377a, v44
	;; [unrolled: 3-line block ×3, first 2 shown]
	v_fmac_f32_e32 v21, 0x3f737871, v48
	s_delay_alu instid0(VALU_DEP_3) | instskip(SKIP_1) | instid1(VALU_DEP_3)
	v_fmac_f32_e32 v6, 0x3f4f1bbd, v45
	v_fmac_f32_e32 v61, 0xbf737871, v15
	;; [unrolled: 1-line block ×3, first 2 shown]
	s_delay_alu instid0(VALU_DEP_2) | instskip(NEXT) | instid1(VALU_DEP_2)
	v_fmac_f32_e32 v61, 0xbf167918, v16
	v_fmac_f32_e32 v21, 0x3e9e377a, v49
	s_delay_alu instid0(VALU_DEP_2) | instskip(SKIP_4) | instid1(VALU_DEP_2)
	v_fmac_f32_e32 v61, 0x3e9e377a, v17
	v_fmamk_f32 v55, v16, 0xbf737871, v7
	v_fmac_f32_e32 v7, 0x3f737871, v16
	v_dual_mul_f32 v16, 0x3f4f1bbd, v10 :: v_dual_add_f32 v17, v14, v8
	v_sub_f32_e32 v8, v14, v8
	v_fma_f32 v16, 0x3f167918, v11, -v16
	s_delay_alu instid0(VALU_DEP_1) | instskip(NEXT) | instid1(VALU_DEP_1)
	v_dual_add_f32 v48, v61, v16 :: v_dual_fmac_f32 v55, 0x3f167918, v15
	v_fmac_f32_e32 v55, 0x3e9e377a, v25
	s_delay_alu instid0(VALU_DEP_1) | instskip(SKIP_2) | instid1(VALU_DEP_3)
	v_dual_add_f32 v28, v55, v9 :: v_dual_fmac_f32 v7, 0xbf167918, v15
	v_mul_f32_e32 v15, 0x3e9e377a, v21
	v_sub_f32_e32 v9, v55, v9
	v_fmac_f32_e32 v7, 0x3e9e377a, v25
	s_delay_alu instid0(VALU_DEP_3) | instskip(SKIP_1) | instid1(VALU_DEP_2)
	v_fma_f32 v15, 0x3f737871, v12, -v15
	v_sub_f32_e32 v25, v61, v16
	v_dual_add_f32 v47, v7, v15 :: v_dual_add_f32 v14, v53, v6
	v_dual_sub_f32 v6, v53, v6 :: v_dual_sub_f32 v7, v7, v15
	ds_store_2addr_b32 v20, v17, v14 offset1:3
	ds_store_2addr_b32 v20, v28, v47 offset0:6 offset1:9
	ds_store_2addr_b32 v20, v48, v8 offset0:12 offset1:15
	;; [unrolled: 1-line block ×4, first 2 shown]
	global_wb scope:SCOPE_SE
	s_wait_dscnt 0x0
	s_barrier_signal -1
	s_barrier_wait -1
	global_inv scope:SCOPE_SE
	ds_load_2addr_b32 v[8:9], v0 offset1:81
	ds_load_2addr_b32 v[6:7], v19 offset0:34 offset1:142
	ds_load_2addr_b32 v[16:17], v33 offset0:28 offset1:109
	ds_load_2addr_b32 v[14:15], v18 offset0:95 offset1:176
	ds_load_b32 v28, v0 offset:2808
	s_and_saveexec_b32 s1, vcc_lo
	s_cbranch_execz .LBB0_21
; %bb.20:
	ds_load_b32 v25, v0 offset:972
	ds_load_b32 v31, v0 offset:2052
	;; [unrolled: 1-line block ×3, first 2 shown]
.LBB0_21:
	s_wait_alu 0xfffe
	s_or_b32 exec_lo, exec_lo, s1
	v_add_f32_e32 v33, v37, v38
	v_dual_add_f32 v18, v5, v36 :: v_dual_sub_f32 v43, v43, v46
	v_sub_f32_e32 v46, v36, v37
	v_dual_sub_f32 v48, v39, v38 :: v_dual_sub_f32 v13, v13, v40
	s_delay_alu instid0(VALU_DEP_4) | instskip(NEXT) | instid1(VALU_DEP_4)
	v_fma_f32 v33, -0.5, v33, v5
	v_dual_add_f32 v18, v18, v37 :: v_dual_add_f32 v47, v36, v39
	s_delay_alu instid0(VALU_DEP_3) | instskip(NEXT) | instid1(VALU_DEP_3)
	v_dual_add_f32 v46, v46, v48 :: v_dual_mul_f32 v11, 0x3f4f1bbd, v11
	v_fmamk_f32 v40, v43, 0xbf737871, v33
	s_delay_alu instid0(VALU_DEP_3) | instskip(SKIP_1) | instid1(VALU_DEP_3)
	v_dual_add_f32 v18, v18, v38 :: v_dual_fmac_f32 v5, -0.5, v47
	v_dual_sub_f32 v36, v37, v36 :: v_dual_sub_f32 v37, v38, v39
	v_dual_fmac_f32 v40, 0xbf167918, v13 :: v_dual_add_f32 v27, v27, v35
	v_fmac_f32_e32 v33, 0x3f737871, v43
	s_delay_alu instid0(VALU_DEP_4) | instskip(SKIP_1) | instid1(VALU_DEP_4)
	v_dual_add_f32 v18, v18, v39 :: v_dual_fmamk_f32 v47, v13, 0x3f737871, v5
	v_fmac_f32_e32 v5, 0xbf737871, v13
	v_dual_add_f32 v27, v27, v34 :: v_dual_mul_f32 v12, 0x3e9e377a, v12
	v_fma_f32 v10, 0xbf167918, v10, -v11
	v_fmac_f32_e32 v40, 0x3e9e377a, v46
	s_delay_alu instid0(VALU_DEP_4)
	v_fmac_f32_e32 v5, 0x3f167918, v43
	global_wb scope:SCOPE_SE
	s_wait_dscnt 0x0
	v_fma_f32 v12, 0xbf737871, v21, -v12
	v_fmac_f32_e32 v33, 0x3f167918, v13
	v_add_f32_e32 v13, v36, v37
	s_barrier_signal -1
	s_barrier_wait -1
	global_inv scope:SCOPE_SE
	v_fmac_f32_e32 v5, 0x3e9e377a, v13
	s_delay_alu instid0(VALU_DEP_1) | instskip(NEXT) | instid1(VALU_DEP_1)
	v_dual_fmac_f32 v47, 0xbf167918, v43 :: v_dual_add_f32 v34, v5, v12
	v_dual_sub_f32 v12, v5, v12 :: v_dual_fmac_f32 v47, 0x3e9e377a, v13
	v_add_f32_e32 v13, v27, v29
	v_mul_f32_e32 v27, 0xbf167918, v45
	v_mul_f32_e32 v29, 0xbf737871, v44
	s_delay_alu instid0(VALU_DEP_3) | instskip(NEXT) | instid1(VALU_DEP_3)
	v_add_f32_e32 v13, v13, v26
	v_fmac_f32_e32 v27, 0x3f4f1bbd, v41
	s_delay_alu instid0(VALU_DEP_3) | instskip(SKIP_1) | instid1(VALU_DEP_4)
	v_fmac_f32_e32 v29, 0x3e9e377a, v42
	v_fmac_f32_e32 v33, 0x3e9e377a, v46
	v_add_f32_e32 v11, v18, v13
	s_delay_alu instid0(VALU_DEP_3) | instskip(SKIP_1) | instid1(VALU_DEP_4)
	v_dual_add_f32 v21, v40, v27 :: v_dual_add_f32 v26, v47, v29
	v_dual_sub_f32 v13, v18, v13 :: v_dual_sub_f32 v18, v40, v27
	v_add_f32_e32 v35, v33, v10
	v_sub_f32_e32 v27, v47, v29
	v_sub_f32_e32 v5, v33, v10
	ds_store_2addr_b32 v20, v11, v21 offset1:3
	ds_store_2addr_b32 v20, v26, v34 offset0:6 offset1:9
	ds_store_2addr_b32 v20, v35, v13 offset0:12 offset1:15
	;; [unrolled: 1-line block ×4, first 2 shown]
	v_add_nc_u32_e32 v18, 0x800, v0
	v_add_nc_u32_e32 v26, 0x400, v0
	global_wb scope:SCOPE_SE
	s_wait_dscnt 0x0
	s_barrier_signal -1
	s_barrier_wait -1
	global_inv scope:SCOPE_SE
	ds_load_2addr_b32 v[12:13], v0 offset1:81
	ds_load_2addr_b32 v[10:11], v19 offset0:34 offset1:142
	ds_load_2addr_b32 v[20:21], v18 offset0:28 offset1:109
	;; [unrolled: 1-line block ×3, first 2 shown]
	ds_load_b32 v29, v0 offset:2808
	s_and_saveexec_b32 s1, vcc_lo
	s_cbranch_execz .LBB0_23
; %bb.22:
	ds_load_b32 v5, v0 offset:972
	ds_load_b32 v24, v0 offset:2052
	;; [unrolled: 1-line block ×3, first 2 shown]
.LBB0_23:
	s_wait_alu 0xfffe
	s_or_b32 exec_lo, exec_lo, s1
	v_add_nc_u32_e32 v33, 0x51, v32
	v_mul_lo_u16 v23, 0x89, v23
	v_add_nc_u32_e32 v34, 0xa2, v32
	s_delay_alu instid0(VALU_DEP_3) | instskip(NEXT) | instid1(VALU_DEP_3)
	v_and_b32_e32 v26, 0xff, v33
	v_lshrrev_b16 v23, 12, v23
	s_delay_alu instid0(VALU_DEP_3) | instskip(NEXT) | instid1(VALU_DEP_3)
	v_and_b32_e32 v35, 0xff, v34
	v_mul_lo_u16 v36, 0x89, v26
	s_delay_alu instid0(VALU_DEP_3) | instskip(NEXT) | instid1(VALU_DEP_3)
	v_mul_lo_u16 v37, v23, 30
	v_mul_lo_u16 v38, 0x89, v35
	v_and_b32_e32 v23, 0xffff, v23
	s_delay_alu instid0(VALU_DEP_4) | instskip(NEXT) | instid1(VALU_DEP_4)
	v_lshrrev_b16 v36, 12, v36
	v_sub_nc_u16 v37, v32, v37
	s_delay_alu instid0(VALU_DEP_4) | instskip(NEXT) | instid1(VALU_DEP_4)
	v_lshrrev_b16 v38, 12, v38
	v_mul_u32_u24_e32 v23, 0x168, v23
	s_delay_alu instid0(VALU_DEP_4) | instskip(NEXT) | instid1(VALU_DEP_4)
	v_mul_lo_u16 v40, v36, 30
	v_and_b32_e32 v37, 0xff, v37
	s_delay_alu instid0(VALU_DEP_4) | instskip(NEXT) | instid1(VALU_DEP_3)
	v_mul_lo_u16 v41, v38, 30
	v_sub_nc_u16 v40, v33, v40
	s_delay_alu instid0(VALU_DEP_3) | instskip(NEXT) | instid1(VALU_DEP_3)
	v_lshlrev_b32_e32 v42, 4, v37
	v_sub_nc_u16 v44, v34, v41
	s_delay_alu instid0(VALU_DEP_3)
	v_and_b32_e32 v45, 0xff, v40
	global_load_b128 v[40:43], v42, s[4:5] offset:216
	v_lshlrev_b32_e32 v46, 4, v45
	global_load_b128 v[48:51], v46, s[4:5] offset:216
	v_add_nc_u32_e32 v27, 0xf3, v32
	v_and_b32_e32 v44, 0xff, v44
	v_lshlrev_b32_e32 v37, 2, v37
	s_delay_alu instid0(VALU_DEP_3) | instskip(NEXT) | instid1(VALU_DEP_3)
	v_and_b32_e32 v26, 0xffff, v27
	v_lshlrev_b32_e32 v47, 4, v44
	s_delay_alu instid0(VALU_DEP_3) | instskip(NEXT) | instid1(VALU_DEP_3)
	v_add3_u32 v37, 0, v23, v37
	v_mul_u32_u24_e32 v39, 0x8889, v26
	s_delay_alu instid0(VALU_DEP_1) | instskip(NEXT) | instid1(VALU_DEP_1)
	v_lshrrev_b32_e32 v39, 20, v39
	v_mul_lo_u16 v39, v39, 30
	s_delay_alu instid0(VALU_DEP_1) | instskip(NEXT) | instid1(VALU_DEP_1)
	v_sub_nc_u16 v39, v27, v39
	v_and_b32_e32 v39, 0xffff, v39
	s_delay_alu instid0(VALU_DEP_1)
	v_lshlrev_b32_e32 v46, 4, v39
	s_clause 0x1
	global_load_b128 v[52:55], v47, s[4:5] offset:216
	global_load_b128 v[56:59], v46, s[4:5] offset:216
	v_and_b32_e32 v36, 0xffff, v36
	v_and_b32_e32 v38, 0xffff, v38
	v_lshlrev_b32_e32 v23, 2, v45
	v_lshlrev_b32_e32 v45, 2, v44
	global_wb scope:SCOPE_SE
	s_wait_loadcnt_dscnt 0x0
	v_mul_u32_u24_e32 v46, 0x168, v36
	v_mul_u32_u24_e32 v47, 0x168, v38
	v_lshl_add_u32 v36, v39, 2, 0
	s_barrier_signal -1
	s_barrier_wait -1
	v_add3_u32 v38, 0, v46, v23
	global_inv scope:SCOPE_SE
	v_dual_mul_f32 v46, v20, v43 :: v_dual_mul_f32 v23, v11, v41
	v_dual_mul_f32 v44, v7, v41 :: v_dual_mul_f32 v41, v16, v43
	s_delay_alu instid0(VALU_DEP_2) | instskip(NEXT) | instid1(VALU_DEP_2)
	v_fma_f32 v46, v16, v42, -v46
	v_dual_fmac_f32 v44, v11, v40 :: v_dual_fmac_f32 v41, v20, v42
	v_dual_mul_f32 v43, v14, v49 :: v_dual_mul_f32 v42, v17, v51
	s_delay_alu instid0(VALU_DEP_2) | instskip(NEXT) | instid1(VALU_DEP_2)
	v_sub_f32_e32 v60, v44, v41
	v_fmac_f32_e32 v42, v21, v50
	v_mul_f32_e32 v20, v15, v53
	v_mul_f32_e32 v16, v30, v59
	s_delay_alu instid0(VALU_DEP_2) | instskip(NEXT) | instid1(VALU_DEP_2)
	v_dual_mul_f32 v11, v28, v55 :: v_dual_fmac_f32 v20, v19, v52
	v_fmac_f32_e32 v16, v22, v58
	v_add3_u32 v39, 0, v47, v45
	v_fma_f32 v45, v7, v40, -v23
	v_mul_f32_e32 v7, v18, v49
	v_mul_f32_e32 v23, v21, v51
	;; [unrolled: 1-line block ×5, first 2 shown]
	v_dual_mul_f32 v40, v31, v57 :: v_dual_mul_f32 v55, v22, v59
	v_add_f32_e32 v59, v45, v46
	v_fma_f32 v47, v14, v48, -v7
	v_fma_f32 v15, v15, v52, -v49
	v_fmac_f32_e32 v43, v18, v48
	v_fma_f32 v48, v17, v50, -v23
	v_add_f32_e32 v57, v8, v45
	v_fma_f32 v18, v28, v54, -v51
	v_fma_f32 v7, -0.5, v59, v8
	v_fmac_f32_e32 v40, v24, v56
	v_add_f32_e32 v22, v47, v48
	v_fma_f32 v19, v30, v58, -v55
	v_add_f32_e32 v8, v57, v46
	v_fma_f32 v17, v31, v56, -v53
	v_add_f32_e32 v28, v15, v18
	v_dual_fmac_f32 v11, v29, v54 :: v_dual_add_f32 v24, v6, v15
	v_dual_sub_f32 v23, v43, v42 :: v_dual_fmamk_f32 v14, v60, 0x3f5db3d7, v7
	s_delay_alu instid0(VALU_DEP_3) | instskip(SKIP_3) | instid1(VALU_DEP_4)
	v_dual_fmac_f32 v6, -0.5, v28 :: v_dual_add_f32 v31, v17, v19
	v_dual_fmac_f32 v7, 0xbf5db3d7, v60 :: v_dual_add_f32 v30, v25, v17
	v_sub_f32_e32 v49, v40, v16
	v_add_f32_e32 v21, v9, v47
	v_fmac_f32_e32 v25, -0.5, v31
	ds_store_2addr_b32 v37, v8, v14 offset1:30
	ds_store_b32 v37, v7 offset:240
	v_add_f32_e32 v28, v30, v19
	v_dual_sub_f32 v29, v20, v11 :: v_dual_fmamk_f32 v14, v49, 0x3f5db3d7, v25
	v_fmac_f32_e32 v9, -0.5, v22
	v_add_f32_e32 v22, v24, v18
	s_delay_alu instid0(VALU_DEP_3)
	v_fmamk_f32 v8, v29, 0x3f5db3d7, v6
	v_add_f32_e32 v21, v21, v48
	v_fmac_f32_e32 v25, 0xbf5db3d7, v49
	v_fmamk_f32 v7, v23, 0x3f5db3d7, v9
	v_dual_fmac_f32 v9, 0xbf5db3d7, v23 :: v_dual_fmac_f32 v6, 0xbf5db3d7, v29
	ds_store_2addr_b32 v38, v21, v7 offset1:30
	ds_store_b32 v38, v9 offset:240
	ds_store_2addr_b32 v39, v22, v8 offset1:30
	ds_store_b32 v39, v6 offset:240
	s_and_saveexec_b32 s1, vcc_lo
	s_cbranch_execz .LBB0_25
; %bb.24:
	v_add_nc_u32_e32 v6, 0x800, v36
	ds_store_2addr_b32 v6, v28, v14 offset0:208 offset1:238
	ds_store_b32 v36, v25 offset:3120
.LBB0_25:
	s_wait_alu 0xfffe
	s_or_b32 exec_lo, exec_lo, s1
	v_add_nc_u32_e32 v6, 0x200, v0
	v_add_nc_u32_e32 v21, 0x800, v0
	;; [unrolled: 1-line block ×3, first 2 shown]
	global_wb scope:SCOPE_SE
	s_wait_dscnt 0x0
	s_barrier_signal -1
	s_barrier_wait -1
	global_inv scope:SCOPE_SE
	ds_load_2addr_b32 v[8:9], v0 offset1:81
	ds_load_2addr_b32 v[6:7], v6 offset0:34 offset1:142
	ds_load_2addr_b32 v[23:24], v21 offset0:28 offset1:109
	;; [unrolled: 1-line block ×3, first 2 shown]
	ds_load_b32 v30, v0 offset:2808
	s_and_saveexec_b32 s1, vcc_lo
	s_cbranch_execz .LBB0_27
; %bb.26:
	ds_load_b32 v28, v0 offset:972
	ds_load_b32 v14, v0 offset:2052
	;; [unrolled: 1-line block ×3, first 2 shown]
.LBB0_27:
	s_wait_alu 0xfffe
	s_or_b32 exec_lo, exec_lo, s1
	v_add_f32_e32 v29, v44, v41
	v_dual_add_f32 v31, v12, v44 :: v_dual_sub_f32 v44, v45, v46
	v_sub_f32_e32 v15, v15, v18
	v_sub_f32_e32 v17, v17, v19
	s_delay_alu instid0(VALU_DEP_4)
	v_fma_f32 v12, -0.5, v29, v12
	v_add_f32_e32 v45, v43, v42
	v_add_f32_e32 v29, v13, v43
	v_sub_f32_e32 v43, v47, v48
	global_wb scope:SCOPE_SE
	s_wait_dscnt 0x0
	v_dual_add_f32 v18, v5, v40 :: v_dual_fmac_f32 v13, -0.5, v45
	v_fmamk_f32 v45, v44, 0xbf5db3d7, v12
	v_fmac_f32_e32 v12, 0x3f5db3d7, v44
	s_barrier_signal -1
	s_barrier_wait -1
	v_fmamk_f32 v44, v43, 0xbf5db3d7, v13
	v_dual_add_f32 v42, v29, v42 :: v_dual_add_f32 v29, v20, v11
	v_dual_add_f32 v41, v31, v41 :: v_dual_add_f32 v20, v10, v20
	global_inv scope:SCOPE_SE
	v_dual_fmac_f32 v10, -0.5, v29 :: v_dual_add_f32 v31, v40, v16
	v_add_f32_e32 v29, v18, v16
	v_fmac_f32_e32 v13, 0x3f5db3d7, v43
	v_add_f32_e32 v11, v20, v11
	s_delay_alu instid0(VALU_DEP_4)
	v_fmamk_f32 v19, v15, 0xbf5db3d7, v10
	v_fmac_f32_e32 v10, 0x3f5db3d7, v15
	v_fmac_f32_e32 v5, -0.5, v31
	ds_store_2addr_b32 v37, v41, v45 offset1:30
	ds_store_b32 v37, v12 offset:240
	ds_store_2addr_b32 v38, v42, v44 offset1:30
	ds_store_b32 v38, v13 offset:240
	;; [unrolled: 2-line block ×3, first 2 shown]
	v_fmamk_f32 v31, v17, 0xbf5db3d7, v5
	v_fmac_f32_e32 v5, 0x3f5db3d7, v17
	s_and_saveexec_b32 s1, vcc_lo
	s_cbranch_execz .LBB0_29
; %bb.28:
	v_add_nc_u32_e32 v10, 0x800, v36
	ds_store_2addr_b32 v10, v29, v31 offset0:208 offset1:238
	ds_store_b32 v36, v5 offset:3120
.LBB0_29:
	s_wait_alu 0xfffe
	s_or_b32 exec_lo, exec_lo, s1
	v_add_nc_u32_e32 v10, 0x200, v0
	v_add_nc_u32_e32 v11, 0x800, v0
	;; [unrolled: 1-line block ×3, first 2 shown]
	global_wb scope:SCOPE_SE
	s_wait_dscnt 0x0
	s_barrier_signal -1
	s_barrier_wait -1
	global_inv scope:SCOPE_SE
	ds_load_2addr_b32 v[19:20], v0 offset1:81
	ds_load_2addr_b32 v[15:16], v10 offset0:34 offset1:142
	ds_load_2addr_b32 v[12:13], v11 offset0:28 offset1:109
	;; [unrolled: 1-line block ×3, first 2 shown]
	ds_load_b32 v36, v0 offset:2808
	s_and_saveexec_b32 s1, vcc_lo
	s_cbranch_execz .LBB0_31
; %bb.30:
	ds_load_b32 v29, v0 offset:972
	ds_load_b32 v31, v0 offset:2052
	;; [unrolled: 1-line block ×3, first 2 shown]
.LBB0_31:
	s_wait_alu 0xfffe
	s_or_b32 exec_lo, exec_lo, s1
	v_dual_mov_b32 v38, 0 :: v_dual_add_nc_u32 v17, -9, v32
	v_mul_lo_u16 v18, 0xb7, v35
	v_lshlrev_b32_e32 v37, 1, v32
	v_cmp_gt_u32_e64 s1, 9, v32
	v_mul_u32_u24_e32 v26, 0x2d83, v26
	s_delay_alu instid0(VALU_DEP_4) | instskip(SKIP_1) | instid1(VALU_DEP_3)
	v_lshrrev_b16 v39, 14, v18
	s_wait_alu 0xf1ff
	v_cndmask_b32_e64 v35, v17, v33, s1
	v_lshlrev_b64_e32 v[17:18], 3, v[37:38]
	v_lshrrev_b32_e32 v26, 20, v26
	v_mul_lo_u16 v40, 0x5a, v39
	s_delay_alu instid0(VALU_DEP_3) | instskip(SKIP_1) | instid1(VALU_DEP_4)
	v_add_co_u32 v17, s1, s4, v17
	s_wait_alu 0xf1ff
	v_add_co_ci_u32_e64 v18, s1, s5, v18, s1
	s_delay_alu instid0(VALU_DEP_3) | instskip(SKIP_4) | instid1(VALU_DEP_2)
	v_sub_nc_u16 v44, v34, v40
	v_mul_lo_u16 v26, 0x5a, v26
	global_load_b128 v[40:43], v[17:18], off offset:696
	v_lshlrev_b32_e32 v37, 1, v35
	v_sub_nc_u16 v26, v27, v26
	v_lshlrev_b64_e32 v[37:38], 3, v[37:38]
	s_delay_alu instid0(VALU_DEP_1) | instskip(SKIP_1) | instid1(VALU_DEP_2)
	v_add_co_u32 v37, s1, s4, v37
	s_wait_alu 0xf1ff
	v_add_co_ci_u32_e64 v38, s1, s5, v38, s1
	v_cmp_lt_u32_e64 s1, 8, v32
	global_load_b128 v[48:51], v[37:38], off offset:696
	v_and_b32_e32 v44, 0xff, v44
	v_and_b32_e32 v26, 0xffff, v26
	s_delay_alu instid0(VALU_DEP_2) | instskip(NEXT) | instid1(VALU_DEP_2)
	v_lshlrev_b32_e32 v37, 4, v44
	v_lshlrev_b32_e32 v38, 4, v26
	s_wait_loadcnt_dscnt 0x102
	v_mul_f32_e32 v46, v12, v43
	s_clause 0x1
	global_load_b128 v[52:55], v37, s[4:5] offset:696
	global_load_b128 v[56:59], v38, s[4:5] offset:696
	s_wait_alu 0xf1ff
	v_cndmask_b32_e64 v37, 0, 0x438, s1
	v_lshlrev_b32_e32 v35, 2, v35
	v_dual_mul_f32 v39, v16, v41 :: v_dual_and_b32 v38, 0xffff, v39
	v_fma_f32 v46, v23, v42, -v46
	global_wb scope:SCOPE_SE
	s_wait_loadcnt_dscnt 0x0
	s_barrier_signal -1
	s_barrier_wait -1
	v_fma_f32 v45, v7, v40, -v39
	global_inv scope:SCOPE_SE
	v_mul_f32_e32 v60, v11, v53
	v_add3_u32 v37, 0, v37, v35
	v_mul_u32_u24_e32 v35, 0x438, v38
	v_lshlrev_b32_e32 v38, 2, v44
	v_mul_f32_e32 v44, v7, v41
	v_mul_f32_e32 v41, v23, v43
	;; [unrolled: 1-line block ×4, first 2 shown]
	s_delay_alu instid0(VALU_DEP_4) | instskip(NEXT) | instid1(VALU_DEP_4)
	v_dual_add_f32 v49, v45, v46 :: v_dual_fmac_f32 v44, v16, v40
	v_dual_fmac_f32 v41, v12, v42 :: v_dual_mul_f32 v12, v13, v51
	v_dual_mul_f32 v42, v24, v51 :: v_dual_mul_f32 v39, v22, v53
	v_dual_mul_f32 v53, v36, v55 :: v_dual_mul_f32 v40, v14, v57
	v_add3_u32 v38, 0, v35, v38
	v_add_f32_e32 v35, v8, v45
	v_dual_sub_f32 v51, v44, v41 :: v_dual_mul_f32 v16, v30, v55
	v_mul_f32_e32 v55, v31, v57
	v_dual_mul_f32 v57, v5, v59 :: v_dual_fmac_f32 v40, v31, v56
	v_fma_f32 v47, v21, v48, -v7
	v_fmac_f32_e32 v42, v13, v50
	v_fma_f32 v8, -0.5, v49, v8
	v_fmac_f32_e32 v43, v10, v48
	v_mul_f32_e32 v23, v25, v59
	v_fma_f32 v48, v24, v50, -v12
	v_fma_f32 v21, v22, v52, -v60
	;; [unrolled: 1-line block ×3, first 2 shown]
	v_sub_f32_e32 v12, v43, v42
	v_fmac_f32_e32 v16, v36, v54
	v_fma_f32 v22, v14, v56, -v55
	v_fma_f32 v25, v25, v58, -v57
	v_fmac_f32_e32 v23, v5, v58
	v_fmac_f32_e32 v39, v11, v52
	v_dual_fmamk_f32 v5, v51, 0x3f5db3d7, v8 :: v_dual_add_f32 v14, v21, v24
	v_add_f32_e32 v11, v47, v48
	v_dual_add_f32 v7, v35, v46 :: v_dual_add_f32 v10, v9, v47
	v_add_f32_e32 v35, v22, v25
	v_dual_add_f32 v13, v6, v21 :: v_dual_sub_f32 v36, v40, v23
	v_sub_f32_e32 v30, v39, v16
	v_dual_fmac_f32 v6, -0.5, v14 :: v_dual_fmac_f32 v9, -0.5, v11
	v_dual_fmac_f32 v8, 0xbf5db3d7, v51 :: v_dual_add_f32 v31, v28, v22
	v_add_f32_e32 v10, v10, v48
	ds_store_2addr_b32 v0, v7, v5 offset1:90
	ds_store_b32 v0, v8 offset:720
	v_fmamk_f32 v11, v30, 0x3f5db3d7, v6
	v_fmac_f32_e32 v6, 0xbf5db3d7, v30
	v_fmamk_f32 v8, v12, 0x3f5db3d7, v9
	v_fmac_f32_e32 v28, -0.5, v35
	v_lshl_add_u32 v26, v26, 2, 0
	v_add_f32_e32 v7, v13, v24
	v_add_f32_e32 v5, v31, v25
	v_fmac_f32_e32 v9, 0xbf5db3d7, v12
	v_fmamk_f32 v30, v36, 0x3f5db3d7, v28
	v_fmac_f32_e32 v28, 0xbf5db3d7, v36
	ds_store_2addr_b32 v37, v10, v8 offset1:90
	ds_store_b32 v37, v9 offset:720
	ds_store_2addr_b32 v38, v7, v11 offset1:90
	ds_store_b32 v38, v6 offset:720
	s_and_saveexec_b32 s1, vcc_lo
	s_cbranch_execz .LBB0_33
; %bb.32:
	v_add_nc_u32_e32 v6, 0x800, v26
	ds_store_2addr_b32 v6, v5, v30 offset0:28 offset1:118
	ds_store_b32 v26, v28 offset:2880
.LBB0_33:
	s_wait_alu 0xfffe
	s_or_b32 exec_lo, exec_lo, s1
	v_add_nc_u32_e32 v6, 0x200, v0
	v_add_nc_u32_e32 v11, 0x800, v0
	;; [unrolled: 1-line block ×3, first 2 shown]
	global_wb scope:SCOPE_SE
	s_wait_dscnt 0x0
	s_barrier_signal -1
	s_barrier_wait -1
	global_inv scope:SCOPE_SE
	ds_load_2addr_b32 v[7:8], v0 offset1:81
	ds_load_2addr_b32 v[9:10], v6 offset0:34 offset1:142
	ds_load_2addr_b32 v[11:12], v11 offset0:28 offset1:109
	;; [unrolled: 1-line block ×3, first 2 shown]
	ds_load_b32 v35, v0 offset:2808
	s_and_saveexec_b32 s1, vcc_lo
	s_cbranch_execz .LBB0_35
; %bb.34:
	ds_load_b32 v5, v0 offset:972
	ds_load_b32 v30, v0 offset:2052
	;; [unrolled: 1-line block ×3, first 2 shown]
.LBB0_35:
	s_wait_alu 0xfffe
	s_or_b32 exec_lo, exec_lo, s1
	v_dual_add_f32 v6, v44, v41 :: v_dual_add_f32 v31, v19, v44
	v_sub_f32_e32 v36, v45, v46
	v_sub_f32_e32 v22, v22, v25
	global_wb scope:SCOPE_SE
	s_wait_dscnt 0x0
	v_fma_f32 v19, -0.5, v6, v19
	v_add_f32_e32 v44, v43, v42
	v_dual_add_f32 v6, v20, v43 :: v_dual_add_f32 v41, v31, v41
	v_sub_f32_e32 v43, v47, v48
	s_delay_alu instid0(VALU_DEP_3) | instskip(SKIP_1) | instid1(VALU_DEP_4)
	v_dual_add_f32 v31, v40, v23 :: v_dual_fmac_f32 v20, -0.5, v44
	v_fmamk_f32 v44, v36, 0xbf5db3d7, v19
	v_dual_fmac_f32 v19, 0x3f5db3d7, v36 :: v_dual_add_f32 v36, v6, v42
	v_add_f32_e32 v6, v39, v16
	s_delay_alu instid0(VALU_DEP_4)
	v_fmamk_f32 v42, v43, 0xbf5db3d7, v20
	v_add_f32_e32 v39, v15, v39
	s_barrier_signal -1
	s_barrier_wait -1
	v_dual_fmac_f32 v15, -0.5, v6 :: v_dual_sub_f32 v6, v21, v24
	v_add_f32_e32 v21, v29, v40
	v_dual_fmac_f32 v29, -0.5, v31 :: v_dual_add_f32 v16, v39, v16
	global_inv scope:SCOPE_SE
	v_fmamk_f32 v31, v22, 0xbf5db3d7, v29
	v_dual_fmac_f32 v29, 0x3f5db3d7, v22 :: v_dual_fmac_f32 v20, 0x3f5db3d7, v43
	v_fmamk_f32 v24, v6, 0xbf5db3d7, v15
	v_dual_fmac_f32 v15, 0x3f5db3d7, v6 :: v_dual_add_f32 v6, v21, v23
	ds_store_2addr_b32 v0, v41, v44 offset1:90
	ds_store_b32 v0, v19 offset:720
	ds_store_2addr_b32 v37, v36, v42 offset1:90
	ds_store_b32 v37, v20 offset:720
	;; [unrolled: 2-line block ×3, first 2 shown]
	s_and_saveexec_b32 s1, vcc_lo
	s_cbranch_execz .LBB0_37
; %bb.36:
	v_add_nc_u32_e32 v15, 0x800, v26
	ds_store_2addr_b32 v15, v6, v31 offset0:28 offset1:118
	ds_store_b32 v26, v29 offset:2880
.LBB0_37:
	s_wait_alu 0xfffe
	s_or_b32 exec_lo, exec_lo, s1
	v_add_nc_u32_e32 v15, 0x200, v0
	v_add_nc_u32_e32 v16, 0x800, v0
	;; [unrolled: 1-line block ×3, first 2 shown]
	global_wb scope:SCOPE_SE
	s_wait_dscnt 0x0
	s_barrier_signal -1
	s_barrier_wait -1
	global_inv scope:SCOPE_SE
	ds_load_2addr_b32 v[19:20], v0 offset1:81
	ds_load_2addr_b32 v[21:22], v15 offset0:34 offset1:142
	ds_load_2addr_b32 v[23:24], v16 offset0:28 offset1:109
	;; [unrolled: 1-line block ×3, first 2 shown]
	ds_load_b32 v36, v0 offset:2808
	s_and_saveexec_b32 s1, vcc_lo
	s_cbranch_execz .LBB0_39
; %bb.38:
	ds_load_b32 v6, v0 offset:972
	ds_load_b32 v31, v0 offset:2052
	;; [unrolled: 1-line block ×3, first 2 shown]
.LBB0_39:
	s_wait_alu 0xfffe
	s_or_b32 exec_lo, exec_lo, s1
	s_and_saveexec_b32 s1, s0
	s_cbranch_execz .LBB0_42
; %bb.40:
	v_dual_mov_b32 v16, 0 :: v_dual_lshlrev_b32 v15, 1, v34
	v_mul_lo_u32 v49, s2, v4
	s_delay_alu instid0(VALU_DEP_2) | instskip(SKIP_1) | instid1(VALU_DEP_1)
	v_lshlrev_b64_e32 v[37:38], 3, v[15:16]
	v_lshlrev_b32_e32 v15, 1, v33
	v_lshlrev_b64_e32 v[45:46], 3, v[15:16]
	s_delay_alu instid0(VALU_DEP_3) | instskip(SKIP_1) | instid1(VALU_DEP_4)
	v_add_co_u32 v33, s0, s4, v37
	s_wait_alu 0xf1ff
	v_add_co_ci_u32_e64 v34, s0, s5, v38, s0
	v_add_nc_u32_e32 v15, 0x51, v32
	s_clause 0x1
	global_load_b128 v[37:40], v[33:34], off offset:2136
	global_load_b128 v[41:44], v[17:18], off offset:2136
	v_add_co_u32 v17, s0, s4, v45
	s_wait_alu 0xf1ff
	v_add_co_ci_u32_e64 v18, s0, s5, v46, s0
	v_mul_hi_u32 v50, 0xf2b9d649, v15
	v_mul_lo_u32 v33, s3, v3
	v_mul_hi_u32 v34, 0xf2b9d649, v32
	global_load_b128 v[45:48], v[17:18], off offset:2136
	v_add_nc_u32_e32 v51, 0xa2, v32
	v_mad_co_u64_u32 v[3:4], null, s2, v3, 0
	v_lshlrev_b64_e32 v[17:18], 3, v[1:2]
	v_lshrrev_b32_e32 v52, 8, v50
	s_delay_alu instid0(VALU_DEP_4)
	v_mul_hi_u32 v1, 0xf2b9d649, v51
	v_lshrrev_b32_e32 v2, 8, v34
	v_mov_b32_e32 v50, v16
	v_add_nc_u32_e32 v0, 0xf3, v32
	v_add3_u32 v4, v4, v49, v33
	v_mul_u32_u24_e32 v53, 0x10e, v52
	v_mul_u32_u24_e32 v33, 0x10e, v2
	v_mov_b32_e32 v34, v16
	v_lshrrev_b32_e32 v49, 8, v1
	v_lshlrev_b64_e32 v[1:2], 3, v[3:4]
	v_sub_nc_u32_e32 v15, v15, v53
	v_sub_nc_u32_e32 v3, v32, v33
	s_delay_alu instid0(VALU_DEP_4) | instskip(NEXT) | instid1(VALU_DEP_4)
	v_mul_u32_u24_e32 v4, 0x10e, v49
	v_add_co_u32 v1, s1, s10, v1
	s_wait_alu 0xf1fe
	v_add_co_ci_u32_e64 v33, s1, s11, v2, s1
	v_mad_u32_u24 v15, 0x32a, v52, v15
	s_delay_alu instid0(VALU_DEP_3)
	v_add_co_u32 v2, s1, v1, v17
	v_lshlrev_b32_e32 v53, 3, v3
	v_sub_nc_u32_e32 v4, v51, v4
	s_wait_alu 0xf1ff
	v_add_co_ci_u32_e64 v3, s1, v33, v18, s1
	v_lshlrev_b64_e32 v[17:18], 3, v[15:16]
	v_add_nc_u32_e32 v33, 0x10e, v15
	v_add_nc_u32_e32 v15, 0x21c, v15
	v_add_co_u32 v51, s1, v2, v53
	s_wait_alu 0xf1ff
	v_add_co_ci_u32_e64 v52, s1, 0, v3, s1
	s_delay_alu instid0(VALU_DEP_3) | instskip(SKIP_4) | instid1(VALU_DEP_3)
	v_lshlrev_b64_e32 v[53:54], 3, v[15:16]
	v_mad_u32_u24 v15, 0x32a, v49, v4
	v_add_co_u32 v17, s1, v2, v17
	s_wait_alu 0xf1ff
	v_add_co_ci_u32_e64 v18, s1, v3, v18, s1
	v_lshlrev_b64_e32 v[55:56], 3, v[15:16]
	v_add_nc_u32_e32 v49, 0x10e, v15
	v_add_nc_u32_e32 v15, 0x21c, v15
	s_delay_alu instid0(VALU_DEP_1)
	v_lshlrev_b64_e32 v[57:58], 3, v[15:16]
	s_wait_loadcnt_dscnt 0x200
	v_dual_mul_f32 v1, v26, v38 :: v_dual_mul_f32 v4, v36, v40
	v_dual_mul_f32 v15, v14, v38 :: v_dual_mul_f32 v38, v35, v40
	s_wait_loadcnt 0x1
	v_mul_f32_e32 v40, v22, v42
	v_dual_mul_f32 v42, v10, v42 :: v_dual_mul_f32 v59, v23, v44
	v_mul_f32_e32 v44, v11, v44
	v_fma_f32 v1, v14, v37, -v1
	v_fma_f32 v4, v35, v39, -v4
	s_delay_alu instid0(VALU_DEP_4)
	v_fmac_f32_e32 v42, v22, v41
	v_dual_fmac_f32 v38, v36, v39 :: v_dual_fmac_f32 v15, v26, v37
	s_wait_loadcnt 0x0
	v_mul_f32_e32 v26, v24, v48
	v_mul_f32_e32 v14, v25, v46
	v_dual_mul_f32 v35, v13, v46 :: v_dual_mul_f32 v36, v12, v48
	v_lshlrev_b64_e32 v[33:34], 3, v[33:34]
	v_fma_f32 v10, v10, v41, -v40
	v_fma_f32 v37, v11, v43, -v59
	v_dual_fmac_f32 v44, v23, v43 :: v_dual_sub_f32 v23, v1, v4
	v_dual_add_f32 v11, v15, v38 :: v_dual_add_f32 v22, v21, v15
	v_dual_add_f32 v39, v1, v4 :: v_dual_fmac_f32 v36, v24, v47
	v_dual_add_f32 v1, v9, v1 :: v_dual_add_f32 v24, v19, v42
	v_fma_f32 v13, v13, v45, -v14
	v_fma_f32 v40, v12, v47, -v26
	v_fmac_f32_e32 v35, v25, v45
	v_add_co_u32 v33, s1, v2, v33
	v_dual_sub_f32 v15, v15, v38 :: v_dual_add_f32 v14, v42, v44
	v_sub_f32_e32 v42, v42, v44
	v_add_f32_e32 v25, v10, v37
	s_wait_alu 0xf1ff
	v_add_co_ci_u32_e64 v34, s1, v3, v34, s1
	v_add_co_u32 v53, s1, v2, v53
	v_lshlrev_b64_e32 v[49:50], 3, v[49:50]
	v_dual_sub_f32 v41, v10, v37 :: v_dual_add_f32 v26, v7, v10
	v_fma_f32 v10, -0.5, v11, v21
	v_dual_add_f32 v12, v22, v38 :: v_dual_add_f32 v11, v1, v4
	v_fma_f32 v9, -0.5, v39, v9
	v_add_f32_e32 v4, v35, v36
	v_add_f32_e32 v39, v13, v40
	s_wait_alu 0xf1ff
	v_add_co_ci_u32_e64 v54, s1, v3, v54, s1
	v_dual_sub_f32 v1, v13, v40 :: v_dual_add_f32 v38, v20, v35
	v_sub_f32_e32 v43, v35, v36
	v_add_f32_e32 v35, v8, v13
	v_fma_f32 v14, -0.5, v14, v19
	v_fma_f32 v13, -0.5, v25, v7
	v_add_co_u32 v55, s1, v2, v55
	s_wait_alu 0xf1ff
	v_add_co_ci_u32_e64 v56, s1, v3, v56, s1
	v_dual_add_f32 v22, v24, v44 :: v_dual_add_f32 v21, v26, v37
	v_fmamk_f32 v24, v23, 0x3f5db3d7, v10
	v_fma_f32 v20, -0.5, v4, v20
	v_fma_f32 v19, -0.5, v39, v8
	v_cmp_gt_u32_e64 s0, 0x10e, v0
	v_add_co_u32 v49, s1, v2, v49
	v_dual_fmac_f32 v10, 0xbf5db3d7, v23 :: v_dual_fmamk_f32 v23, v15, 0xbf5db3d7, v9
	v_dual_fmac_f32 v9, 0x3f5db3d7, v15 :: v_dual_fmamk_f32 v8, v41, 0x3f5db3d7, v14
	;; [unrolled: 1-line block ×3, first 2 shown]
	v_fmac_f32_e32 v13, 0x3f5db3d7, v42
	s_wait_alu 0xf1ff
	v_add_co_ci_u32_e64 v50, s1, v3, v50, s1
	v_add_co_u32 v57, s1, v2, v57
	v_add_f32_e32 v26, v38, v36
	v_dual_add_f32 v25, v35, v40 :: v_dual_fmamk_f32 v36, v1, 0x3f5db3d7, v20
	v_dual_fmac_f32 v20, 0xbf5db3d7, v1 :: v_dual_fmamk_f32 v35, v43, 0xbf5db3d7, v19
	v_fmac_f32_e32 v19, 0x3f5db3d7, v43
	s_wait_alu 0xf1ff
	v_add_co_ci_u32_e64 v58, s1, v3, v58, s1
	s_clause 0x8
	global_store_b64 v[51:52], v[21:22], off
	global_store_b64 v[51:52], v[13:14], off offset:2160
	global_store_b64 v[51:52], v[7:8], off offset:4320
	global_store_b64 v[17:18], v[25:26], off
	global_store_b64 v[33:34], v[19:20], off
	;; [unrolled: 1-line block ×6, first 2 shown]
	s_and_b32 exec_lo, exec_lo, s0
	s_cbranch_execz .LBB0_42
; %bb.41:
	v_subrev_nc_u32_e32 v1, 27, v32
	s_delay_alu instid0(VALU_DEP_1) | instskip(NEXT) | instid1(VALU_DEP_1)
	v_cndmask_b32_e32 v1, v1, v27, vcc_lo
	v_lshlrev_b32_e32 v15, 1, v1
	s_delay_alu instid0(VALU_DEP_1) | instskip(NEXT) | instid1(VALU_DEP_1)
	v_lshlrev_b64_e32 v[7:8], 3, v[15:16]
	v_add_co_u32 v7, vcc_lo, s4, v7
	s_wait_alu 0xfffd
	s_delay_alu instid0(VALU_DEP_2) | instskip(SKIP_2) | instid1(VALU_DEP_1)
	v_add_co_ci_u32_e32 v8, vcc_lo, s5, v8, vcc_lo
	global_load_b128 v[7:10], v[7:8], off offset:2136
	v_add_nc_u32_e32 v15, 0x201, v32
	v_lshlrev_b64_e32 v[11:12], 3, v[15:16]
	v_add_nc_u32_e32 v15, 0x30f, v32
	s_delay_alu instid0(VALU_DEP_1) | instskip(SKIP_4) | instid1(VALU_DEP_3)
	v_lshlrev_b64_e32 v[13:14], 3, v[15:16]
	s_wait_loadcnt 0x0
	v_mul_f32_e32 v4, v31, v8
	v_dual_mul_f32 v8, v30, v8 :: v_dual_mov_b32 v1, v16
	v_mul_f32_e32 v16, v28, v10
	v_fma_f32 v4, v30, v7, -v4
	s_delay_alu instid0(VALU_DEP_3) | instskip(NEXT) | instid1(VALU_DEP_4)
	v_fmac_f32_e32 v8, v31, v7
	v_lshlrev_b64_e32 v[0:1], 3, v[0:1]
	s_delay_alu instid0(VALU_DEP_4) | instskip(SKIP_1) | instid1(VALU_DEP_3)
	v_fmac_f32_e32 v16, v29, v9
	v_mul_f32_e32 v15, v29, v10
	v_add_co_u32 v0, vcc_lo, v2, v0
	s_wait_alu 0xfffd
	s_delay_alu instid0(VALU_DEP_4)
	v_add_co_ci_u32_e32 v1, vcc_lo, v3, v1, vcc_lo
	v_add_co_u32 v10, vcc_lo, v2, v11
	s_wait_alu 0xfffd
	v_add_co_ci_u32_e32 v11, vcc_lo, v3, v12, vcc_lo
	v_add_co_u32 v2, vcc_lo, v2, v13
	s_wait_alu 0xfffd
	v_add_co_ci_u32_e32 v3, vcc_lo, v3, v14, vcc_lo
	v_sub_f32_e32 v14, v8, v16
	v_fma_f32 v7, v28, v9, -v15
	s_delay_alu instid0(VALU_DEP_1) | instskip(SKIP_1) | instid1(VALU_DEP_2)
	v_dual_add_f32 v12, v5, v4 :: v_dual_add_f32 v9, v4, v7
	v_sub_f32_e32 v4, v4, v7
	v_add_f32_e32 v7, v12, v7
	s_delay_alu instid0(VALU_DEP_3) | instskip(SKIP_2) | instid1(VALU_DEP_3)
	v_fmac_f32_e32 v5, -0.5, v9
	v_add_f32_e32 v13, v8, v16
	v_add_f32_e32 v8, v6, v8
	v_fmamk_f32 v12, v14, 0x3f5db3d7, v5
	s_delay_alu instid0(VALU_DEP_3) | instskip(NEXT) | instid1(VALU_DEP_3)
	v_dual_fmac_f32 v6, -0.5, v13 :: v_dual_fmac_f32 v5, 0xbf5db3d7, v14
	v_add_f32_e32 v8, v8, v16
	s_delay_alu instid0(VALU_DEP_2)
	v_fmamk_f32 v13, v4, 0xbf5db3d7, v6
	v_fmac_f32_e32 v6, 0x3f5db3d7, v4
	s_clause 0x2
	global_store_b64 v[0:1], v[7:8], off
	global_store_b64 v[10:11], v[12:13], off
	;; [unrolled: 1-line block ×3, first 2 shown]
.LBB0_42:
	s_nop 0
	s_sendmsg sendmsg(MSG_DEALLOC_VGPRS)
	s_endpgm
	.section	.rodata,"a",@progbits
	.p2align	6, 0x0
	.amdhsa_kernel fft_rtc_fwd_len810_factors_3_10_3_3_3_wgs_81_tpt_81_halfLds_sp_op_CI_CI_unitstride_sbrr_dirReg
		.amdhsa_group_segment_fixed_size 0
		.amdhsa_private_segment_fixed_size 0
		.amdhsa_kernarg_size 104
		.amdhsa_user_sgpr_count 2
		.amdhsa_user_sgpr_dispatch_ptr 0
		.amdhsa_user_sgpr_queue_ptr 0
		.amdhsa_user_sgpr_kernarg_segment_ptr 1
		.amdhsa_user_sgpr_dispatch_id 0
		.amdhsa_user_sgpr_private_segment_size 0
		.amdhsa_wavefront_size32 1
		.amdhsa_uses_dynamic_stack 0
		.amdhsa_enable_private_segment 0
		.amdhsa_system_sgpr_workgroup_id_x 1
		.amdhsa_system_sgpr_workgroup_id_y 0
		.amdhsa_system_sgpr_workgroup_id_z 0
		.amdhsa_system_sgpr_workgroup_info 0
		.amdhsa_system_vgpr_workitem_id 0
		.amdhsa_next_free_vgpr 64
		.amdhsa_next_free_sgpr 39
		.amdhsa_reserve_vcc 1
		.amdhsa_float_round_mode_32 0
		.amdhsa_float_round_mode_16_64 0
		.amdhsa_float_denorm_mode_32 3
		.amdhsa_float_denorm_mode_16_64 3
		.amdhsa_fp16_overflow 0
		.amdhsa_workgroup_processor_mode 1
		.amdhsa_memory_ordered 1
		.amdhsa_forward_progress 0
		.amdhsa_round_robin_scheduling 0
		.amdhsa_exception_fp_ieee_invalid_op 0
		.amdhsa_exception_fp_denorm_src 0
		.amdhsa_exception_fp_ieee_div_zero 0
		.amdhsa_exception_fp_ieee_overflow 0
		.amdhsa_exception_fp_ieee_underflow 0
		.amdhsa_exception_fp_ieee_inexact 0
		.amdhsa_exception_int_div_zero 0
	.end_amdhsa_kernel
	.text
.Lfunc_end0:
	.size	fft_rtc_fwd_len810_factors_3_10_3_3_3_wgs_81_tpt_81_halfLds_sp_op_CI_CI_unitstride_sbrr_dirReg, .Lfunc_end0-fft_rtc_fwd_len810_factors_3_10_3_3_3_wgs_81_tpt_81_halfLds_sp_op_CI_CI_unitstride_sbrr_dirReg
                                        ; -- End function
	.section	.AMDGPU.csdata,"",@progbits
; Kernel info:
; codeLenInByte = 8256
; NumSgprs: 41
; NumVgprs: 64
; ScratchSize: 0
; MemoryBound: 0
; FloatMode: 240
; IeeeMode: 1
; LDSByteSize: 0 bytes/workgroup (compile time only)
; SGPRBlocks: 5
; VGPRBlocks: 7
; NumSGPRsForWavesPerEU: 41
; NumVGPRsForWavesPerEU: 64
; Occupancy: 16
; WaveLimiterHint : 1
; COMPUTE_PGM_RSRC2:SCRATCH_EN: 0
; COMPUTE_PGM_RSRC2:USER_SGPR: 2
; COMPUTE_PGM_RSRC2:TRAP_HANDLER: 0
; COMPUTE_PGM_RSRC2:TGID_X_EN: 1
; COMPUTE_PGM_RSRC2:TGID_Y_EN: 0
; COMPUTE_PGM_RSRC2:TGID_Z_EN: 0
; COMPUTE_PGM_RSRC2:TIDIG_COMP_CNT: 0
	.text
	.p2alignl 7, 3214868480
	.fill 96, 4, 3214868480
	.type	__hip_cuid_bcf7668a75095c8c,@object ; @__hip_cuid_bcf7668a75095c8c
	.section	.bss,"aw",@nobits
	.globl	__hip_cuid_bcf7668a75095c8c
__hip_cuid_bcf7668a75095c8c:
	.byte	0                               ; 0x0
	.size	__hip_cuid_bcf7668a75095c8c, 1

	.ident	"AMD clang version 19.0.0git (https://github.com/RadeonOpenCompute/llvm-project roc-6.4.0 25133 c7fe45cf4b819c5991fe208aaa96edf142730f1d)"
	.section	".note.GNU-stack","",@progbits
	.addrsig
	.addrsig_sym __hip_cuid_bcf7668a75095c8c
	.amdgpu_metadata
---
amdhsa.kernels:
  - .args:
      - .actual_access:  read_only
        .address_space:  global
        .offset:         0
        .size:           8
        .value_kind:     global_buffer
      - .offset:         8
        .size:           8
        .value_kind:     by_value
      - .actual_access:  read_only
        .address_space:  global
        .offset:         16
        .size:           8
        .value_kind:     global_buffer
      - .actual_access:  read_only
        .address_space:  global
        .offset:         24
        .size:           8
        .value_kind:     global_buffer
      - .actual_access:  read_only
        .address_space:  global
        .offset:         32
        .size:           8
        .value_kind:     global_buffer
      - .offset:         40
        .size:           8
        .value_kind:     by_value
      - .actual_access:  read_only
        .address_space:  global
        .offset:         48
        .size:           8
        .value_kind:     global_buffer
      - .actual_access:  read_only
        .address_space:  global
        .offset:         56
        .size:           8
        .value_kind:     global_buffer
      - .offset:         64
        .size:           4
        .value_kind:     by_value
      - .actual_access:  read_only
        .address_space:  global
        .offset:         72
        .size:           8
        .value_kind:     global_buffer
      - .actual_access:  read_only
        .address_space:  global
        .offset:         80
        .size:           8
        .value_kind:     global_buffer
      - .actual_access:  read_only
        .address_space:  global
        .offset:         88
        .size:           8
        .value_kind:     global_buffer
      - .actual_access:  write_only
        .address_space:  global
        .offset:         96
        .size:           8
        .value_kind:     global_buffer
    .group_segment_fixed_size: 0
    .kernarg_segment_align: 8
    .kernarg_segment_size: 104
    .language:       OpenCL C
    .language_version:
      - 2
      - 0
    .max_flat_workgroup_size: 81
    .name:           fft_rtc_fwd_len810_factors_3_10_3_3_3_wgs_81_tpt_81_halfLds_sp_op_CI_CI_unitstride_sbrr_dirReg
    .private_segment_fixed_size: 0
    .sgpr_count:     41
    .sgpr_spill_count: 0
    .symbol:         fft_rtc_fwd_len810_factors_3_10_3_3_3_wgs_81_tpt_81_halfLds_sp_op_CI_CI_unitstride_sbrr_dirReg.kd
    .uniform_work_group_size: 1
    .uses_dynamic_stack: false
    .vgpr_count:     64
    .vgpr_spill_count: 0
    .wavefront_size: 32
    .workgroup_processor_mode: 1
amdhsa.target:   amdgcn-amd-amdhsa--gfx1201
amdhsa.version:
  - 1
  - 2
...

	.end_amdgpu_metadata
